;; amdgpu-corpus repo=ROCm/rocFFT kind=compiled arch=gfx1030 opt=O3
	.text
	.amdgcn_target "amdgcn-amd-amdhsa--gfx1030"
	.amdhsa_code_object_version 6
	.protected	fft_rtc_fwd_len343_factors_7_7_7_wgs_245_tpt_49_dp_ip_CI_sbcc_twdbase6_3step ; -- Begin function fft_rtc_fwd_len343_factors_7_7_7_wgs_245_tpt_49_dp_ip_CI_sbcc_twdbase6_3step
	.globl	fft_rtc_fwd_len343_factors_7_7_7_wgs_245_tpt_49_dp_ip_CI_sbcc_twdbase6_3step
	.p2align	8
	.type	fft_rtc_fwd_len343_factors_7_7_7_wgs_245_tpt_49_dp_ip_CI_sbcc_twdbase6_3step,@function
fft_rtc_fwd_len343_factors_7_7_7_wgs_245_tpt_49_dp_ip_CI_sbcc_twdbase6_3step: ; @fft_rtc_fwd_len343_factors_7_7_7_wgs_245_tpt_49_dp_ip_CI_sbcc_twdbase6_3step
; %bb.0:
	s_load_dwordx8 s[8:15], s[4:5], 0x8
	s_mov_b32 s0, exec_lo
	v_cmpx_gt_u32_e32 0xc0, v0
	s_cbranch_execz .LBB0_2
; %bb.1:
	v_lshlrev_b32_e32 v5, 4, v0
	s_waitcnt lgkmcnt(0)
	global_load_dwordx4 v[1:4], v5, s[8:9]
	v_add3_u32 v5, 0, v5, 0x6b30
	s_waitcnt vmcnt(0)
	ds_write2_b64 v5, v[1:2], v[3:4] offset1:1
.LBB0_2:
	s_or_b32 exec_lo, exec_lo, s0
	s_waitcnt lgkmcnt(0)
	s_load_dwordx2 s[16:17], s[12:13], 0x8
	s_mov_b64 s[22:23], 0
	s_waitcnt lgkmcnt(0)
	s_add_u32 s0, s16, -1
	s_addc_u32 s1, s17, -1
	s_add_u32 s2, 0, 0x3330c000
	s_addc_u32 s3, 0, 0xb3
	s_mul_hi_u32 s8, s2, -5
	s_add_i32 s3, s3, 0x33333280
	s_sub_i32 s8, s8, s2
	s_mul_i32 s18, s3, -5
	s_mul_i32 s7, s2, -5
	s_add_i32 s8, s8, s18
	s_mul_hi_u32 s9, s2, s7
	s_mul_i32 s20, s2, s8
	s_mul_hi_u32 s18, s2, s8
	s_mul_hi_u32 s19, s3, s7
	s_mul_i32 s7, s3, s7
	s_add_u32 s9, s9, s20
	s_addc_u32 s18, 0, s18
	s_mul_hi_u32 s21, s3, s8
	s_add_u32 s7, s9, s7
	s_mul_i32 s8, s3, s8
	s_addc_u32 s7, s18, s19
	s_addc_u32 s9, s21, 0
	s_add_u32 s7, s7, s8
	v_add_co_u32 v1, s2, s2, s7
	s_addc_u32 s7, 0, s9
	s_cmp_lg_u32 s2, 0
	s_addc_u32 s2, s3, s7
	v_readfirstlane_b32 s3, v1
	s_mul_i32 s8, s0, s2
	s_mul_hi_u32 s7, s0, s2
	s_mul_hi_u32 s9, s1, s2
	s_mul_i32 s2, s1, s2
	s_mul_hi_u32 s18, s0, s3
	s_mul_hi_u32 s19, s1, s3
	s_mul_i32 s3, s1, s3
	s_add_u32 s8, s18, s8
	s_addc_u32 s7, 0, s7
	s_add_u32 s3, s8, s3
	s_addc_u32 s3, s7, s19
	s_addc_u32 s7, s9, 0
	s_add_u32 s2, s3, s2
	s_addc_u32 s3, 0, s7
	s_mul_i32 s8, s2, 5
	s_add_u32 s7, s2, 1
	v_sub_co_u32 v1, s0, s0, s8
	s_mul_hi_u32 s8, s2, 5
	s_addc_u32 s9, s3, 0
	s_mul_i32 s18, s3, 5
	v_sub_co_u32 v2, s19, v1, 5
	s_add_u32 s20, s2, 2
	s_addc_u32 s21, s3, 0
	s_add_i32 s8, s8, s18
	s_cmp_lg_u32 s0, 0
	v_readfirstlane_b32 s0, v2
	s_subb_u32 s1, s1, s8
	s_cmp_lg_u32 s19, 0
	s_subb_u32 s8, s1, 0
	s_cmp_gt_u32 s0, 4
	s_cselect_b32 s0, -1, 0
	s_cmp_eq_u32 s8, 0
	v_readfirstlane_b32 s8, v1
	s_cselect_b32 s0, s0, -1
	s_cmp_lg_u32 s0, 0
	s_cselect_b32 s0, s20, s7
	s_cselect_b32 s9, s21, s9
	s_cmp_gt_u32 s8, 4
	s_cselect_b32 s7, -1, 0
	s_cmp_eq_u32 s1, 0
	s_cselect_b32 s1, s7, -1
	s_mov_b32 s7, 0
	s_cmp_lg_u32 s1, 0
	s_cselect_b32 s0, s0, s2
	s_cselect_b32 s1, s9, s3
	s_add_u32 s18, s0, 1
	s_addc_u32 s19, s1, 0
	v_cmp_lt_u64_e64 s0, s[6:7], s[18:19]
	s_and_b32 vcc_lo, exec_lo, s0
	s_cbranch_vccnz .LBB0_4
; %bb.3:
	v_cvt_f32_u32_e32 v1, s18
	s_sub_i32 s1, 0, s18
	s_mov_b32 s23, s7
	v_rcp_iflag_f32_e32 v1, v1
	v_mul_f32_e32 v1, 0x4f7ffffe, v1
	v_cvt_u32_f32_e32 v1, v1
	v_readfirstlane_b32 s0, v1
	s_mul_i32 s1, s1, s0
	s_mul_hi_u32 s1, s0, s1
	s_add_i32 s0, s0, s1
	s_mul_hi_u32 s0, s6, s0
	s_mul_i32 s1, s0, s18
	s_add_i32 s2, s0, 1
	s_sub_i32 s1, s6, s1
	s_sub_i32 s3, s1, s18
	s_cmp_ge_u32 s1, s18
	s_cselect_b32 s0, s2, s0
	s_cselect_b32 s1, s3, s1
	s_add_i32 s2, s0, 1
	s_cmp_ge_u32 s1, s18
	s_cselect_b32 s22, s2, s0
.LBB0_4:
	s_load_dwordx4 s[0:3], s[14:15], 0x0
	s_clause 0x1
	s_load_dwordx2 s[8:9], s[4:5], 0x58
	s_load_dwordx2 s[20:21], s[4:5], 0x0
	s_mul_i32 s4, s22, s19
	s_mul_hi_u32 s5, s22, s18
	s_mul_i32 s24, s22, s18
	s_add_i32 s5, s5, s4
	s_sub_u32 s34, s6, s24
	s_subb_u32 s4, 0, s5
	s_mul_hi_u32 s33, s34, 5
	s_mul_i32 s4, s4, 5
	v_cmp_lt_u64_e64 s25, s[10:11], 3
	s_mul_i32 s34, s34, 5
	s_add_i32 s33, s33, s4
	s_and_b32 vcc_lo, exec_lo, s25
	s_waitcnt lgkmcnt(0)
	s_mul_i32 s4, s2, s33
	s_mul_hi_u32 s5, s2, s34
	s_mul_i32 s24, s3, s34
	s_add_i32 s4, s5, s4
	s_mul_i32 s35, s2, s34
	s_add_i32 s36, s4, s24
	s_cbranch_vccnz .LBB0_14
; %bb.5:
	s_add_u32 s4, s14, 16
	s_addc_u32 s5, s15, 0
	s_add_u32 s12, s12, 16
	s_addc_u32 s13, s13, 0
	s_mov_b64 s[24:25], 2
	s_mov_b32 s26, 0
.LBB0_6:                                ; =>This Inner Loop Header: Depth=1
	s_load_dwordx2 s[28:29], s[12:13], 0x0
	s_waitcnt lgkmcnt(0)
	s_or_b64 s[30:31], s[22:23], s[28:29]
	s_mov_b32 s27, s31
                                        ; implicit-def: $sgpr30_sgpr31
	s_cmp_lg_u64 s[26:27], 0
	s_mov_b32 s27, -1
	s_cbranch_scc0 .LBB0_8
; %bb.7:                                ;   in Loop: Header=BB0_6 Depth=1
	v_cvt_f32_u32_e32 v1, s28
	v_cvt_f32_u32_e32 v2, s29
	s_sub_u32 s31, 0, s28
	s_subb_u32 s37, 0, s29
	v_fmac_f32_e32 v1, 0x4f800000, v2
	v_rcp_f32_e32 v1, v1
	v_mul_f32_e32 v1, 0x5f7ffffc, v1
	v_mul_f32_e32 v2, 0x2f800000, v1
	v_trunc_f32_e32 v2, v2
	v_fmac_f32_e32 v1, 0xcf800000, v2
	v_cvt_u32_f32_e32 v2, v2
	v_cvt_u32_f32_e32 v1, v1
	v_readfirstlane_b32 s27, v2
	v_readfirstlane_b32 s30, v1
	s_mul_i32 s38, s31, s27
	s_mul_hi_u32 s40, s31, s30
	s_mul_i32 s39, s37, s30
	s_add_i32 s38, s40, s38
	s_mul_i32 s41, s31, s30
	s_add_i32 s38, s38, s39
	s_mul_hi_u32 s40, s30, s41
	s_mul_hi_u32 s42, s27, s41
	s_mul_i32 s39, s27, s41
	s_mul_hi_u32 s41, s30, s38
	s_mul_i32 s30, s30, s38
	s_mul_hi_u32 s43, s27, s38
	s_add_u32 s30, s40, s30
	s_addc_u32 s40, 0, s41
	s_add_u32 s30, s30, s39
	s_mul_i32 s38, s27, s38
	s_addc_u32 s30, s40, s42
	s_addc_u32 s39, s43, 0
	s_add_u32 s30, s30, s38
	s_addc_u32 s38, 0, s39
	v_add_co_u32 v1, s30, v1, s30
	s_cmp_lg_u32 s30, 0
	s_addc_u32 s27, s27, s38
	v_readfirstlane_b32 s30, v1
	s_mul_i32 s38, s31, s27
	s_mul_hi_u32 s39, s31, s30
	s_mul_i32 s37, s37, s30
	s_add_i32 s38, s39, s38
	s_mul_i32 s31, s31, s30
	s_add_i32 s38, s38, s37
	s_mul_hi_u32 s39, s27, s31
	s_mul_i32 s40, s27, s31
	s_mul_hi_u32 s31, s30, s31
	s_mul_hi_u32 s41, s30, s38
	s_mul_i32 s30, s30, s38
	s_mul_hi_u32 s37, s27, s38
	s_add_u32 s30, s31, s30
	s_addc_u32 s31, 0, s41
	s_add_u32 s30, s30, s40
	s_mul_i32 s38, s27, s38
	s_addc_u32 s30, s31, s39
	s_addc_u32 s31, s37, 0
	s_add_u32 s30, s30, s38
	s_addc_u32 s31, 0, s31
	v_add_co_u32 v1, s30, v1, s30
	s_cmp_lg_u32 s30, 0
	s_addc_u32 s27, s27, s31
	v_readfirstlane_b32 s30, v1
	s_mul_i32 s37, s22, s27
	s_mul_hi_u32 s31, s22, s27
	s_mul_hi_u32 s38, s23, s27
	s_mul_i32 s27, s23, s27
	s_mul_hi_u32 s39, s22, s30
	s_mul_hi_u32 s40, s23, s30
	s_mul_i32 s30, s23, s30
	s_add_u32 s37, s39, s37
	s_addc_u32 s31, 0, s31
	s_add_u32 s30, s37, s30
	s_addc_u32 s30, s31, s40
	s_addc_u32 s31, s38, 0
	s_add_u32 s30, s30, s27
	s_addc_u32 s31, 0, s31
	s_mul_hi_u32 s27, s28, s30
	s_mul_i32 s38, s28, s31
	s_mul_i32 s39, s28, s30
	s_add_i32 s27, s27, s38
	v_sub_co_u32 v1, s38, s22, s39
	s_mul_i32 s37, s29, s30
	s_add_i32 s27, s27, s37
	v_sub_co_u32 v2, s39, v1, s28
	s_sub_i32 s37, s23, s27
	s_cmp_lg_u32 s38, 0
	s_subb_u32 s37, s37, s29
	s_cmp_lg_u32 s39, 0
	v_readfirstlane_b32 s39, v2
	s_subb_u32 s37, s37, 0
	s_cmp_ge_u32 s37, s29
	s_cselect_b32 s40, -1, 0
	s_cmp_ge_u32 s39, s28
	s_cselect_b32 s39, -1, 0
	s_cmp_eq_u32 s37, s29
	s_cselect_b32 s37, s39, s40
	s_add_u32 s39, s30, 1
	s_addc_u32 s40, s31, 0
	s_add_u32 s41, s30, 2
	s_addc_u32 s42, s31, 0
	s_cmp_lg_u32 s37, 0
	s_cselect_b32 s37, s41, s39
	s_cselect_b32 s39, s42, s40
	s_cmp_lg_u32 s38, 0
	v_readfirstlane_b32 s38, v1
	s_subb_u32 s27, s23, s27
	s_cmp_ge_u32 s27, s29
	s_cselect_b32 s40, -1, 0
	s_cmp_ge_u32 s38, s28
	s_cselect_b32 s38, -1, 0
	s_cmp_eq_u32 s27, s29
	s_cselect_b32 s27, s38, s40
	s_cmp_lg_u32 s27, 0
	s_mov_b32 s27, 0
	s_cselect_b32 s31, s39, s31
	s_cselect_b32 s30, s37, s30
.LBB0_8:                                ;   in Loop: Header=BB0_6 Depth=1
	s_andn2_b32 vcc_lo, exec_lo, s27
	s_cbranch_vccnz .LBB0_10
; %bb.9:                                ;   in Loop: Header=BB0_6 Depth=1
	v_cvt_f32_u32_e32 v1, s28
	s_sub_i32 s30, 0, s28
	v_rcp_iflag_f32_e32 v1, v1
	v_mul_f32_e32 v1, 0x4f7ffffe, v1
	v_cvt_u32_f32_e32 v1, v1
	v_readfirstlane_b32 s27, v1
	s_mul_i32 s30, s30, s27
	s_mul_hi_u32 s30, s27, s30
	s_add_i32 s27, s27, s30
	s_mul_hi_u32 s27, s22, s27
	s_mul_i32 s30, s27, s28
	s_add_i32 s31, s27, 1
	s_sub_i32 s30, s22, s30
	s_sub_i32 s37, s30, s28
	s_cmp_ge_u32 s30, s28
	s_cselect_b32 s27, s31, s27
	s_cselect_b32 s30, s37, s30
	s_add_i32 s31, s27, 1
	s_cmp_ge_u32 s30, s28
	s_cselect_b32 s30, s31, s27
	s_mov_b32 s31, s26
.LBB0_10:                               ;   in Loop: Header=BB0_6 Depth=1
	s_load_dwordx2 s[38:39], s[4:5], 0x0
	s_mul_i32 s19, s28, s19
	s_mul_hi_u32 s27, s28, s18
	s_mul_i32 s37, s29, s18
	s_mul_i32 s29, s30, s29
	s_mul_hi_u32 s40, s30, s28
	s_mul_i32 s41, s31, s28
	s_add_i32 s19, s27, s19
	s_add_i32 s27, s40, s29
	s_mul_i32 s42, s30, s28
	s_add_i32 s19, s19, s37
	s_add_i32 s27, s27, s41
	s_sub_u32 s22, s22, s42
	s_subb_u32 s23, s23, s27
	s_mul_i32 s18, s28, s18
	s_waitcnt lgkmcnt(0)
	s_mul_i32 s23, s38, s23
	s_mul_hi_u32 s27, s38, s22
	s_add_i32 s23, s27, s23
	s_mul_i32 s27, s39, s22
	s_mul_i32 s22, s38, s22
	s_add_i32 s23, s23, s27
	s_add_u32 s35, s22, s35
	s_addc_u32 s36, s23, s36
	s_add_u32 s24, s24, 1
	s_addc_u32 s25, s25, 0
	s_add_u32 s4, s4, 8
	v_cmp_ge_u64_e64 s22, s[24:25], s[10:11]
	s_addc_u32 s5, s5, 0
	s_add_u32 s12, s12, 8
	s_addc_u32 s13, s13, 0
	s_and_b32 vcc_lo, exec_lo, s22
	s_cbranch_vccnz .LBB0_12
; %bb.11:                               ;   in Loop: Header=BB0_6 Depth=1
	s_mov_b64 s[22:23], s[30:31]
	s_branch .LBB0_6
.LBB0_12:
	v_cmp_lt_u64_e64 s4, s[6:7], s[18:19]
	s_mov_b64 s[22:23], 0
	s_and_b32 vcc_lo, exec_lo, s4
	s_cbranch_vccnz .LBB0_14
; %bb.13:
	v_cvt_f32_u32_e32 v1, s18
	s_sub_i32 s5, 0, s18
	v_rcp_iflag_f32_e32 v1, v1
	v_mul_f32_e32 v1, 0x4f7ffffe, v1
	v_cvt_u32_f32_e32 v1, v1
	v_readfirstlane_b32 s4, v1
	s_mul_i32 s5, s5, s4
	s_mul_hi_u32 s5, s4, s5
	s_add_i32 s4, s4, s5
	s_mul_hi_u32 s4, s6, s4
	s_mul_i32 s5, s4, s18
	s_sub_i32 s5, s6, s5
	s_add_i32 s6, s4, 1
	s_sub_i32 s7, s5, s18
	s_cmp_ge_u32 s5, s18
	s_cselect_b32 s4, s6, s4
	s_cselect_b32 s5, s7, s5
	s_add_i32 s6, s4, 1
	s_cmp_ge_u32 s5, s18
	s_cselect_b32 s22, s6, s4
.LBB0_14:
	s_lshl_b64 s[4:5], s[10:11], 3
	v_mul_hi_u32 v11, 0x33333334, v0
	s_add_u32 s4, s14, s4
	s_addc_u32 s5, s15, s5
	v_mov_b32_e32 v1, 0
	s_load_dwordx2 s[4:5], s[4:5], 0x0
	v_mul_u32_u24_e32 v2, 5, v11
	v_lshlrev_b32_e32 v14, 4, v11
	v_add_nc_u32_e32 v12, 49, v11
	v_add_nc_u32_e32 v10, 0x62, v11
	;; [unrolled: 1-line block ×3, first 2 shown]
	v_sub_nc_u32_e32 v13, v0, v2
	v_add_nc_u32_e32 v8, 0xc4, v11
	v_add_nc_u32_e32 v7, 0xf5, v11
	;; [unrolled: 1-line block ×3, first 2 shown]
	v_add_co_u32 v2, s6, s34, v13
	v_add_co_ci_u32_e64 v3, null, s33, 0, s6
	v_mul_lo_u32 v15, 0x1570, v13
	s_waitcnt lgkmcnt(0)
	s_mul_i32 s5, s5, s22
	s_mul_hi_u32 s6, s4, s22
	s_mul_i32 s4, s4, s22
	s_add_i32 s6, s6, s5
	s_add_u32 s4, s4, s35
	s_addc_u32 s5, s6, s36
	s_add_u32 s6, s34, 5
	s_addc_u32 s7, s33, 0
	v_cmp_gt_u64_e32 vcc_lo, s[16:17], v[2:3]
	v_cmp_le_u64_e64 s6, s[6:7], s[16:17]
	s_or_b32 s30, s6, vcc_lo
	s_and_saveexec_b32 s6, s30
	s_cbranch_execz .LBB0_16
; %bb.15:
	v_mad_u64_u32 v[2:3], null, s2, v13, 0
	v_mad_u64_u32 v[4:5], null, s0, v11, 0
	;; [unrolled: 1-line block ×3, first 2 shown]
	s_lshl_b64 s[10:11], s[4:5], 4
	v_mad_u64_u32 v[20:21], null, s0, v10, 0
	s_add_u32 s7, s8, s10
	v_mad_u64_u32 v[18:19], null, s3, v13, v[3:4]
	v_mad_u64_u32 v[22:23], null, s1, v11, v[5:6]
	s_addc_u32 s10, s9, s11
	v_mad_u64_u32 v[26:27], null, s0, v7, 0
	v_add3_u32 v40, 0, v15, v14
	v_mov_b32_e32 v3, v18
	v_mad_u64_u32 v[23:24], null, s1, v12, v[17:18]
	v_mov_b32_e32 v5, v22
	v_mad_u64_u32 v[24:25], null, s0, v8, 0
	v_lshlrev_b64 v[2:3], 4, v[2:3]
	v_mov_b32_e32 v18, v21
	v_lshlrev_b64 v[4:5], 4, v[4:5]
	v_mov_b32_e32 v17, v23
	v_mad_u64_u32 v[22:23], null, s0, v9, 0
	v_add_co_u32 v36, vcc_lo, s7, v2
	v_add_co_ci_u32_e32 v37, vcc_lo, s10, v3, vcc_lo
	v_mad_u64_u32 v[18:19], null, s1, v10, v[18:19]
	v_add_co_u32 v2, vcc_lo, v36, v4
	v_add_co_ci_u32_e32 v3, vcc_lo, v37, v5, vcc_lo
	v_mov_b32_e32 v4, v23
	v_mov_b32_e32 v5, v25
	v_mov_b32_e32 v21, v18
	v_lshlrev_b64 v[16:17], 4, v[16:17]
	v_mad_u64_u32 v[28:29], null, s1, v9, v[4:5]
	v_mad_u64_u32 v[29:30], null, s1, v8, v[5:6]
	;; [unrolled: 1-line block ×3, first 2 shown]
	v_lshlrev_b64 v[20:21], 4, v[20:21]
	v_add_co_u32 v16, vcc_lo, v36, v16
	v_mov_b32_e32 v23, v28
	v_mad_u64_u32 v[27:28], null, s1, v7, v[27:28]
	v_mov_b32_e32 v28, v31
	v_mov_b32_e32 v25, v29
	v_lshlrev_b64 v[22:23], 4, v[22:23]
	v_add_co_ci_u32_e32 v17, vcc_lo, v37, v17, vcc_lo
	v_mad_u64_u32 v[28:29], null, s1, v6, v[28:29]
	v_add_co_u32 v20, vcc_lo, v36, v20
	v_lshlrev_b64 v[24:25], 4, v[24:25]
	v_add_co_ci_u32_e32 v21, vcc_lo, v37, v21, vcc_lo
	v_add_co_u32 v32, vcc_lo, v36, v22
	v_mov_b32_e32 v31, v28
	v_add_co_ci_u32_e32 v33, vcc_lo, v37, v23, vcc_lo
	v_lshlrev_b64 v[22:23], 4, v[26:27]
	v_add_co_u32 v28, vcc_lo, v36, v24
	v_add_co_ci_u32_e32 v29, vcc_lo, v37, v25, vcc_lo
	v_lshlrev_b64 v[24:25], 4, v[30:31]
	v_add_co_u32 v34, vcc_lo, v36, v22
	v_add_co_ci_u32_e32 v35, vcc_lo, v37, v23, vcc_lo
	s_clause 0x1
	global_load_dwordx4 v[2:5], v[2:3], off
	global_load_dwordx4 v[16:19], v[16:17], off
	v_add_co_u32 v36, vcc_lo, v36, v24
	v_add_co_ci_u32_e32 v37, vcc_lo, v37, v25, vcc_lo
	s_clause 0x4
	global_load_dwordx4 v[20:23], v[20:21], off
	global_load_dwordx4 v[24:27], v[32:33], off
	;; [unrolled: 1-line block ×5, first 2 shown]
	s_waitcnt vmcnt(6)
	ds_write_b128 v40, v[2:5]
	s_waitcnt vmcnt(5)
	ds_write_b128 v40, v[16:19] offset:784
	s_waitcnt vmcnt(4)
	ds_write_b128 v40, v[20:23] offset:1568
	;; [unrolled: 2-line block ×6, first 2 shown]
.LBB0_16:
	s_or_b32 exec_lo, exec_lo, s6
	s_add_u32 s6, 0, 0x3330c000
	s_addc_u32 s7, 0, 0xb3
	s_mul_hi_u32 s11, s6, -5
	s_add_i32 s7, s7, 0x33333280
	s_sub_i32 s11, s11, s6
	s_mul_i32 s12, s7, -5
	s_mul_i32 s10, s6, -5
	s_add_i32 s11, s11, s12
	s_mul_hi_u32 s13, s7, s10
	s_mul_i32 s12, s7, s10
	s_mul_i32 s14, s6, s11
	s_mul_hi_u32 s10, s6, s10
	s_mul_hi_u32 s15, s6, s11
	s_add_u32 s10, s10, s14
	v_mul_hi_u32 v16, 0x539782a, v0
	s_addc_u32 s14, 0, s15
	s_mul_hi_u32 s15, s7, s11
	s_add_u32 s10, s10, s12
	s_addc_u32 s10, s14, s13
	s_mul_i32 s11, s7, s11
	s_addc_u32 s12, s15, 0
	s_add_u32 s10, s10, s11
	s_waitcnt lgkmcnt(0)
	v_add_co_u32 v4, s6, s6, s10
	s_addc_u32 s10, 0, s12
	s_cmp_lg_u32 s6, 0
	v_add_co_u32 v18, s6, s34, v16
	s_addc_u32 s7, s7, s10
	v_add_co_ci_u32_e64 v17, null, s33, 0, s6
	v_mad_u64_u32 v[2:3], null, v18, s7, 0
	v_mul_hi_u32 v19, v18, v4
	v_mad_u64_u32 v[4:5], null, v17, v4, 0
	s_barrier
	buffer_gl0_inv
	s_mov_b32 s14, 0x37e14327
	s_mov_b32 s18, 0xe976ee23
	;; [unrolled: 1-line block ×3, first 2 shown]
	v_add_co_u32 v19, vcc_lo, v19, v2
	v_add_co_ci_u32_e32 v20, vcc_lo, 0, v3, vcc_lo
	v_mad_u64_u32 v[2:3], null, v17, s7, 0
	v_add_co_u32 v4, vcc_lo, v19, v4
	v_add_co_ci_u32_e32 v4, vcc_lo, v20, v5, vcc_lo
	s_mov_b32 s19, 0xbfe11646
	s_mov_b32 s12, 0x429ad128
	v_add_co_ci_u32_e32 v3, vcc_lo, 0, v3, vcc_lo
	v_add_co_u32 v2, vcc_lo, v4, v2
	s_mov_b32 s6, 0x36b3c0b5
	v_add_co_ci_u32_e32 v4, vcc_lo, 0, v3, vcc_lo
	v_mad_u64_u32 v[2:3], null, v2, 5, 0
	s_mov_b32 s13, 0x3febfeb5
	s_mov_b32 s7, 0x3fac98ee
	;; [unrolled: 1-line block ×6, first 2 shown]
	v_mad_u64_u32 v[3:4], null, v4, 5, v[3:4]
	v_sub_co_u32 v2, vcc_lo, v18, v2
	s_mov_b32 s29, 0x3fd5d0dc
	s_mov_b32 s17, 0x3fe77f67
	;; [unrolled: 1-line block ×4, first 2 shown]
	v_sub_co_ci_u32_e32 v3, vcc_lo, v17, v3, vcc_lo
	v_sub_co_u32 v4, vcc_lo, v2, 5
	s_mov_b32 s22, s16
	v_subrev_co_ci_u32_e32 v5, vcc_lo, 0, v3, vcc_lo
	v_cmp_lt_u32_e32 vcc_lo, 4, v4
	s_mov_b32 s26, s28
	s_mov_b32 s24, 0x37c3f68c
	s_mov_b32 s25, 0x3fdc38aa
	v_cndmask_b32_e64 v17, 0, -1, vcc_lo
	v_cmp_lt_u32_e32 vcc_lo, 4, v2
	v_cndmask_b32_e64 v19, 0, -1, vcc_lo
	v_cmp_eq_u32_e32 vcc_lo, 0, v5
	v_cndmask_b32_e32 v5, -1, v17, vcc_lo
	v_cmp_eq_u32_e32 vcc_lo, 0, v3
	v_add_nc_u32_e32 v17, -5, v4
	v_cndmask_b32_e32 v3, -1, v19, vcc_lo
	v_cmp_ne_u32_e32 vcc_lo, 0, v5
	v_mul_u32_u24_e32 v5, 49, v16
	v_cndmask_b32_e32 v4, v4, v17, vcc_lo
	v_cmp_ne_u32_e32 vcc_lo, 0, v3
	v_sub_nc_u32_e32 v19, v0, v5
	v_cndmask_b32_e32 v2, v2, v4, vcc_lo
	v_lshlrev_b32_e32 v3, 4, v19
	v_mul_u32_u24_e32 v0, 0x157, v2
	v_lshlrev_b32_e32 v2, 4, v0
	v_and_b32_e32 v0, 0xff, v19
	v_add3_u32 v16, 0, v3, v2
	ds_read_b128 v[20:23], v16 offset:784
	ds_read_b128 v[24:27], v16 offset:4704
	;; [unrolled: 1-line block ×4, first 2 shown]
	v_add3_u32 v17, 0, v2, v3
	ds_read_b128 v[36:39], v16 offset:3136
	ds_read_b128 v[40:43], v16 offset:2352
	ds_read_b128 v[44:47], v17
	v_mul_lo_u16 v0, v0, 37
	s_waitcnt lgkmcnt(0)
	s_barrier
	buffer_gl0_inv
	v_lshrrev_b16 v0, 8, v0
	v_sub_nc_u16 v5, v19, v0
	v_add_f64 v[3:4], v[20:21], v[24:25]
	v_add_f64 v[48:49], v[22:23], v[26:27]
	;; [unrolled: 1-line block ×4, first 2 shown]
	v_add_f64 v[28:29], v[28:29], -v[32:33]
	v_add_f64 v[30:31], v[30:31], -v[34:35]
	v_add_f64 v[32:33], v[40:41], v[36:37]
	v_add_f64 v[34:35], v[42:43], v[38:39]
	v_add_f64 v[36:37], v[36:37], -v[40:41]
	v_add_f64 v[38:39], v[38:39], -v[42:43]
	;; [unrolled: 1-line block ×4, first 2 shown]
	v_lshrrev_b16 v5, 1, v5
	v_and_b32_e32 v5, 0x7f, v5
	v_add_nc_u16 v0, v5, v0
	v_add_f64 v[20:21], v[50:51], v[3:4]
	v_add_f64 v[22:23], v[52:53], v[48:49]
	v_lshrrev_b16 v5, 2, v0
	v_add_f64 v[40:41], v[3:4], -v[32:33]
	v_add_f64 v[42:43], v[48:49], -v[34:35]
	;; [unrolled: 1-line block ×6, first 2 shown]
	v_add_f64 v[28:29], v[36:37], v[28:29]
	v_add_f64 v[30:31], v[38:39], v[30:31]
	v_add_f64 v[36:37], v[24:25], -v[36:37]
	v_add_f64 v[38:39], v[26:27], -v[38:39]
	;; [unrolled: 1-line block ×3, first 2 shown]
	v_mul_lo_u16 v0, v5, 7
	v_and_b32_e32 v5, 0xffff, v5
	v_sub_nc_u16 v82, v19, v0
	v_add_f64 v[62:63], v[32:33], v[20:21]
	v_add_f64 v[64:65], v[34:35], v[22:23]
	v_add_f64 v[32:33], v[32:33], -v[50:51]
	v_add_f64 v[34:35], v[34:35], -v[52:53]
	v_mul_f64 v[40:41], v[40:41], s[14:15]
	v_mul_f64 v[42:43], v[42:43], s[14:15]
	;; [unrolled: 1-line block ×6, first 2 shown]
	v_add_f64 v[24:25], v[28:29], v[24:25]
	v_add_f64 v[26:27], v[30:31], v[26:27]
	v_add_f64 v[20:21], v[44:45], v[62:63]
	v_add_f64 v[22:23], v[46:47], v[64:65]
	v_add_f64 v[44:45], v[52:53], -v[48:49]
	v_mul_f64 v[46:47], v[32:33], s[6:7]
	v_mul_f64 v[48:49], v[34:35], s[6:7]
	v_fma_f64 v[28:29], v[32:33], s[6:7], v[40:41]
	v_fma_f64 v[30:31], v[34:35], s[6:7], v[42:43]
	;; [unrolled: 1-line block ×4, first 2 shown]
	v_fma_f64 v[50:51], v[58:59], s[12:13], -v[54:55]
	v_fma_f64 v[52:53], v[60:61], s[12:13], -v[56:57]
	;; [unrolled: 1-line block ×5, first 2 shown]
	v_fma_f64 v[54:55], v[62:63], s[10:11], v[20:21]
	v_fma_f64 v[56:57], v[64:65], s[10:11], v[22:23]
	v_fma_f64 v[42:43], v[44:45], s[22:23], -v[42:43]
	v_fma_f64 v[3:4], v[3:4], s[16:17], -v[46:47]
	;; [unrolled: 1-line block ×3, first 2 shown]
	v_fma_f64 v[46:47], v[24:25], s[24:25], v[32:33]
	v_fma_f64 v[48:49], v[26:27], s[24:25], v[34:35]
	;; [unrolled: 1-line block ×6, first 2 shown]
	v_add_f64 v[62:63], v[28:29], v[54:55]
	v_add_f64 v[64:65], v[30:31], v[56:57]
	;; [unrolled: 1-line block ×7, first 2 shown]
	v_add_f64 v[26:27], v[64:65], -v[46:47]
	v_add_f64 v[28:29], v[40:41], v[60:61]
	v_add_f64 v[30:31], v[42:43], -v[58:59]
	v_add_f64 v[32:33], v[3:4], -v[52:53]
	v_add_f64 v[34:35], v[50:51], v[38:39]
	v_add_f64 v[36:37], v[3:4], v[52:53]
	v_add_f64 v[38:39], v[38:39], -v[50:51]
	v_add_f64 v[40:41], v[40:41], -v[60:61]
	v_add_f64 v[42:43], v[58:59], v[42:43]
	v_add_f64 v[44:45], v[62:63], -v[48:49]
	v_add_f64 v[46:47], v[46:47], v[64:65]
	v_mov_b32_e32 v3, 6
	v_mul_u32_u24_sdwa v0, v82, v3 dst_sel:DWORD dst_unused:UNUSED_PAD src0_sel:BYTE_0 src1_sel:DWORD
	v_mad_i32_i24 v3, 0x60, v19, v16
	ds_write_b128 v3, v[20:23]
	ds_write_b128 v3, v[24:27] offset:16
	ds_write_b128 v3, v[28:31] offset:32
	;; [unrolled: 1-line block ×6, first 2 shown]
	v_lshlrev_b32_e32 v0, 4, v0
	s_waitcnt lgkmcnt(0)
	s_barrier
	buffer_gl0_inv
	s_clause 0x5
	global_load_dwordx4 v[20:23], v0, s[20:21]
	global_load_dwordx4 v[24:27], v0, s[20:21] offset:16
	global_load_dwordx4 v[28:31], v0, s[20:21] offset:80
	;; [unrolled: 1-line block ×5, first 2 shown]
	ds_read_b128 v[44:47], v16 offset:784
	ds_read_b128 v[48:51], v16 offset:1568
	;; [unrolled: 1-line block ×6, first 2 shown]
	ds_read_b128 v[68:71], v17
	v_mul_i32_i24_e32 v0, 6, v19
	s_waitcnt vmcnt(0) lgkmcnt(0)
	s_barrier
	buffer_gl0_inv
	v_mul_lo_u32 v19, v19, v18
	v_lshlrev_b64 v[0:1], 4, v[0:1]
	v_mul_f64 v[3:4], v[46:47], v[22:23]
	v_mul_f64 v[22:23], v[44:45], v[22:23]
	;; [unrolled: 1-line block ×12, first 2 shown]
	v_fma_f64 v[3:4], v[44:45], v[20:21], -v[3:4]
	v_fma_f64 v[20:21], v[46:47], v[20:21], v[22:23]
	v_fma_f64 v[22:23], v[48:49], v[24:25], -v[72:73]
	v_fma_f64 v[24:25], v[50:51], v[24:25], v[26:27]
	;; [unrolled: 2-line block ×6, first 2 shown]
	v_mul_lo_u32 v76, v18, 49
	v_lshrrev_b32_e32 v18, 2, v19
	v_and_b32_e32 v18, 0x3f0, v18
	v_add_f64 v[42:43], v[3:4], v[26:27]
	v_add_f64 v[44:45], v[20:21], v[28:29]
	;; [unrolled: 1-line block ×4, first 2 shown]
	v_add_f64 v[22:23], v[22:23], -v[30:31]
	v_add_f64 v[24:25], v[24:25], -v[32:33]
	v_add_f64 v[30:31], v[34:35], v[38:39]
	v_add_f64 v[32:33], v[36:37], v[40:41]
	v_add_f64 v[34:35], v[38:39], -v[34:35]
	v_add_f64 v[36:37], v[40:41], -v[36:37]
	;; [unrolled: 1-line block ×4, first 2 shown]
	v_add_f64 v[20:21], v[46:47], v[42:43]
	v_add_f64 v[28:29], v[48:49], v[44:45]
	v_add_f64 v[38:39], v[42:43], -v[30:31]
	v_add_f64 v[40:41], v[44:45], -v[32:33]
	;; [unrolled: 1-line block ×6, first 2 shown]
	v_add_f64 v[60:61], v[34:35], v[22:23]
	v_add_f64 v[24:25], v[36:37], v[24:25]
	v_add_f64 v[34:35], v[3:4], -v[34:35]
	v_add_f64 v[36:37], v[26:27], -v[36:37]
	;; [unrolled: 1-line block ×4, first 2 shown]
	v_add_f64 v[58:59], v[30:31], v[20:21]
	v_add_f64 v[28:29], v[32:33], v[28:29]
	v_add_f64 v[30:31], v[30:31], -v[46:47]
	v_add_f64 v[32:33], v[32:33], -v[48:49]
	v_mul_f64 v[38:39], v[38:39], s[14:15]
	v_mul_f64 v[40:41], v[40:41], s[14:15]
	;; [unrolled: 1-line block ×6, first 2 shown]
	v_add_f64 v[3:4], v[60:61], v[3:4]
	v_add_f64 v[24:25], v[24:25], v[26:27]
	;; [unrolled: 1-line block ×4, first 2 shown]
	v_mul_f64 v[46:47], v[30:31], s[6:7]
	v_mul_f64 v[48:49], v[32:33], s[6:7]
	v_fma_f64 v[26:27], v[30:31], s[6:7], v[38:39]
	v_fma_f64 v[30:31], v[32:33], s[6:7], v[40:41]
	;; [unrolled: 1-line block ×4, first 2 shown]
	v_fma_f64 v[50:51], v[54:55], s[12:13], -v[50:51]
	v_fma_f64 v[34:35], v[34:35], s[26:27], -v[62:63]
	;; [unrolled: 1-line block ×6, first 2 shown]
	v_fma_f64 v[54:55], v[58:59], s[10:11], v[20:21]
	v_fma_f64 v[28:29], v[28:29], s[10:11], v[22:23]
	v_fma_f64 v[42:43], v[42:43], s[16:17], -v[46:47]
	v_fma_f64 v[44:45], v[44:45], s[16:17], -v[48:49]
	v_fma_f64 v[46:47], v[3:4], s[24:25], v[32:33]
	v_fma_f64 v[48:49], v[24:25], s[24:25], v[60:61]
	;; [unrolled: 1-line block ×6, first 2 shown]
	v_add_f64 v[58:59], v[26:27], v[54:55]
	v_add_f64 v[60:61], v[30:31], v[28:29]
	;; [unrolled: 1-line block ×6, first 2 shown]
	v_mov_b32_e32 v54, 4
	v_add_f64 v[24:25], v[48:49], v[58:59]
	v_add_f64 v[26:27], v[60:61], -v[46:47]
	v_add_f64 v[28:29], v[56:57], v[62:63]
	v_add_f64 v[30:31], v[64:65], -v[3:4]
	v_add_f64 v[32:33], v[36:37], -v[52:53]
	v_add_f64 v[34:35], v[50:51], v[38:39]
	v_add_f64 v[36:37], v[52:53], v[36:37]
	v_add_f64 v[38:39], v[38:39], -v[50:51]
	v_add_f64 v[40:41], v[62:63], -v[56:57]
	v_add_f64 v[42:43], v[3:4], v[64:65]
	v_add_f64 v[44:45], v[58:59], -v[48:49]
	v_add_f64 v[46:47], v[46:47], v[60:61]
	v_mad_u32_u24 v3, 0x310, v5, 0
	v_lshlrev_b32_sdwa v4, v54, v82 dst_sel:DWORD dst_unused:UNUSED_PAD src0_sel:DWORD src1_sel:BYTE_0
	v_add3_u32 v2, v3, v4, v2
	v_add_co_u32 v4, vcc_lo, s20, v0
	v_add_co_ci_u32_e32 v5, vcc_lo, s21, v1, vcc_lo
	ds_write_b128 v2, v[20:23]
	ds_write_b128 v2, v[24:27] offset:112
	ds_write_b128 v2, v[28:31] offset:224
	;; [unrolled: 1-line block ×6, first 2 shown]
	s_waitcnt lgkmcnt(0)
	s_barrier
	buffer_gl0_inv
	s_clause 0x1
	global_load_dwordx4 v[0:3], v[4:5], off offset:672
	global_load_dwordx4 v[20:23], v[4:5], off offset:688
	v_add_nc_u32_e32 v25, v19, v76
	v_and_b32_e32 v24, 63, v19
	v_lshrrev_b32_e32 v19, 8, v19
	s_add_i32 s20, 0, 0x6b30
	v_add_nc_u32_e32 v26, v25, v76
	v_lshrrev_b32_e32 v27, 2, v25
	v_and_b32_e32 v28, 63, v25
	v_and_b32_e32 v19, 0x3f0, v19
	v_lshrrev_b32_e32 v25, 8, v25
	v_lshrrev_b32_e32 v29, 2, v26
	v_lshl_add_u32 v24, v24, 4, 0
	v_and_b32_e32 v27, 0x3f0, v27
	v_and_b32_e32 v30, 63, v26
	v_lshl_add_u32 v32, v28, 4, 0
	v_add_nc_u32_e32 v28, v26, v76
	v_add_nc_u32_e32 v56, s20, v19
	v_and_b32_e32 v19, 0x3f0, v25
	v_lshrrev_b32_e32 v25, 8, v26
	v_and_b32_e32 v26, 0x3f0, v29
	v_add_nc_u32_e32 v18, s20, v18
	v_add_nc_u32_e32 v36, s20, v27
	v_lshl_add_u32 v40, v30, 4, 0
	v_lshrrev_b32_e32 v33, 2, v28
	v_and_b32_e32 v34, 63, v28
	v_add_nc_u32_e32 v41, v28, v76
	v_add_nc_u32_e32 v60, s20, v19
	v_and_b32_e32 v19, 0x3f0, v25
	v_lshrrev_b32_e32 v42, 8, v28
	v_add_nc_u32_e32 v44, s20, v26
	ds_read_b128 v[24:27], v24 offset:27440
	ds_read_b128 v[28:31], v18 offset:1024
	v_and_b32_e32 v18, 0x3f0, v33
	v_lshl_add_u32 v48, v34, 4, 0
	v_lshrrev_b32_e32 v43, 2, v41
	ds_read_b128 v[32:35], v32 offset:27440
	ds_read_b128 v[36:39], v36 offset:1024
	v_and_b32_e32 v45, 63, v41
	v_add_nc_u32_e32 v18, s20, v18
	v_add_nc_u32_e32 v77, v41, v76
	;; [unrolled: 1-line block ×3, first 2 shown]
	v_and_b32_e32 v79, 0x3f0, v42
	v_lshrrev_b32_e32 v96, 8, v41
	v_and_b32_e32 v57, 0x3f0, v43
	v_lshl_add_u32 v68, v45, 4, 0
	ds_read_b128 v[40:43], v40 offset:27440
	ds_read_b128 v[44:47], v44 offset:1024
	;; [unrolled: 1-line block ×4, first 2 shown]
	v_lshrrev_b32_e32 v80, 2, v77
	v_and_b32_e32 v81, 63, v77
	v_add_nc_u32_e32 v72, s20, v57
	ds_read_b128 v[56:59], v56 offset:2048
	ds_read_b128 v[60:63], v60 offset:2048
	global_load_dwordx4 v[64:67], v[4:5], off offset:704
	v_add_nc_u32_e32 v102, v77, v76
	s_waitcnt lgkmcnt(8)
	v_mul_f64 v[18:19], v[26:27], v[30:31]
	v_mul_f64 v[30:31], v[24:25], v[30:31]
	v_and_b32_e32 v76, 0x3f0, v80
	v_add_nc_u32_e32 v80, s20, v79
	s_waitcnt lgkmcnt(6)
	v_mul_f64 v[84:85], v[34:35], v[38:39]
	v_mul_f64 v[38:39], v[32:33], v[38:39]
	v_lshl_add_u32 v94, v81, 4, 0
	v_add_nc_u32_e32 v95, s20, v76
	ds_read_b128 v[68:71], v68 offset:27440
	ds_read_b128 v[72:75], v72 offset:1024
	v_lshrrev_b32_e32 v97, 8, v77
	ds_read_b128 v[76:79], v78 offset:2048
	ds_read_b128 v[80:83], v80 offset:2048
	s_waitcnt lgkmcnt(8)
	v_mul_f64 v[86:87], v[42:43], v[46:47]
	s_waitcnt lgkmcnt(6)
	v_mul_f64 v[88:89], v[50:51], v[54:55]
	v_mul_f64 v[46:47], v[40:41], v[46:47]
	v_lshrrev_b32_e32 v98, 2, v102
	v_fma_f64 v[90:91], v[24:25], v[28:29], -v[18:19]
	v_mul_f64 v[18:19], v[48:49], v[54:55]
	v_fma_f64 v[92:93], v[26:27], v[28:29], v[30:31]
	ds_read_b128 v[24:27], v94 offset:27440
	ds_read_b128 v[28:31], v95 offset:1024
	v_fma_f64 v[54:55], v[32:33], v[36:37], -v[84:85]
	v_and_b32_e32 v32, 0x3f0, v96
	v_and_b32_e32 v33, 63, v102
	v_fma_f64 v[84:85], v[34:35], v[36:37], v[38:39]
	v_and_b32_e32 v34, 0x3f0, v98
	v_and_b32_e32 v35, 0x3f0, v97
	v_add_nc_u32_e32 v98, s20, v32
	v_lshl_add_u32 v32, v33, 4, 0
	s_waitcnt lgkmcnt(4)
	v_mul_f64 v[94:95], v[70:71], v[74:75]
	v_add_nc_u32_e32 v36, s20, v34
	v_mul_f64 v[74:75], v[68:69], v[74:75]
	v_fma_f64 v[88:89], v[48:49], v[52:53], -v[88:89]
	v_add_nc_u32_e32 v99, s20, v35
	v_fma_f64 v[86:87], v[40:41], v[44:45], -v[86:87]
	v_fma_f64 v[96:97], v[42:43], v[44:45], v[46:47]
	ds_read_b128 v[32:35], v32 offset:27440
	ds_read_b128 v[36:39], v36 offset:1024
	;; [unrolled: 1-line block ×4, first 2 shown]
	v_fma_f64 v[52:53], v[50:51], v[52:53], v[18:19]
	s_waitcnt lgkmcnt(4)
	v_mul_f64 v[18:19], v[26:27], v[30:31]
	v_mul_f64 v[30:31], v[24:25], v[30:31]
	global_load_dwordx4 v[48:51], v[4:5], off offset:736
	v_fma_f64 v[68:69], v[68:69], v[72:73], -v[94:95]
	v_fma_f64 v[70:71], v[70:71], v[72:73], v[74:75]
	s_waitcnt lgkmcnt(2)
	v_mul_f64 v[72:73], v[34:35], v[38:39]
	v_fma_f64 v[74:75], v[24:25], v[28:29], -v[18:19]
	v_mul_f64 v[18:19], v[32:33], v[38:39]
	v_fma_f64 v[94:95], v[26:27], v[28:29], v[30:31]
	ds_read_b128 v[24:27], v16 offset:784
	ds_read_b128 v[28:31], v17
	v_fma_f64 v[72:73], v[32:33], v[36:37], -v[72:73]
	v_fma_f64 v[100:101], v[34:35], v[36:37], v[18:19]
	ds_read_b128 v[36:39], v16 offset:1568
	global_load_dwordx4 v[32:35], v[4:5], off offset:752
	s_waitcnt vmcnt(4) lgkmcnt(2)
	v_mul_f64 v[98:99], v[26:27], v[2:3]
	v_mul_f64 v[2:3], v[24:25], v[2:3]
	v_fma_f64 v[24:25], v[24:25], v[0:1], -v[98:99]
	v_fma_f64 v[26:27], v[26:27], v[0:1], v[2:3]
	ds_read_b128 v[0:3], v16 offset:2352
	s_waitcnt vmcnt(3) lgkmcnt(1)
	v_mul_f64 v[17:18], v[38:39], v[22:23]
	v_mul_f64 v[22:23], v[36:37], v[22:23]
	;; [unrolled: 1-line block ×3, first 2 shown]
	v_fma_f64 v[36:37], v[36:37], v[20:21], -v[17:18]
	v_fma_f64 v[21:22], v[38:39], v[20:21], v[22:23]
	global_load_dwordx4 v[17:20], v[4:5], off offset:720
	s_waitcnt vmcnt(3) lgkmcnt(0)
	v_mul_f64 v[4:5], v[2:3], v[66:67]
	v_mul_f64 v[38:39], v[0:1], v[66:67]
	v_fma_f64 v[4:5], v[0:1], v[64:65], -v[4:5]
	v_fma_f64 v[38:39], v[2:3], v[64:65], v[38:39]
	ds_read_b128 v[0:3], v16 offset:3920
	s_waitcnt vmcnt(2) lgkmcnt(0)
	v_mul_f64 v[64:65], v[2:3], v[50:51]
	v_mul_f64 v[50:51], v[0:1], v[50:51]
	v_fma_f64 v[64:65], v[0:1], v[48:49], -v[64:65]
	v_fma_f64 v[48:49], v[2:3], v[48:49], v[50:51]
	ds_read_b128 v[0:3], v16 offset:4704
	s_waitcnt vmcnt(1) lgkmcnt(0)
	v_mul_f64 v[50:51], v[2:3], v[34:35]
	v_mul_f64 v[34:35], v[0:1], v[34:35]
	v_add_f64 v[66:67], v[21:22], v[48:49]
	v_add_f64 v[21:22], v[21:22], -v[48:49]
	v_fma_f64 v[50:51], v[0:1], v[32:33], -v[50:51]
	v_fma_f64 v[32:33], v[2:3], v[32:33], v[34:35]
	ds_read_b128 v[0:3], v16 offset:3136
	s_waitcnt vmcnt(0) lgkmcnt(0)
	v_mul_f64 v[34:35], v[2:3], v[19:20]
	v_mul_f64 v[19:20], v[0:1], v[19:20]
	v_fma_f64 v[0:1], v[0:1], v[17:18], -v[34:35]
	v_fma_f64 v[2:3], v[2:3], v[17:18], v[19:20]
	v_add_f64 v[17:18], v[24:25], v[50:51]
	v_add_f64 v[19:20], v[36:37], v[64:65]
	;; [unrolled: 1-line block ×3, first 2 shown]
	v_add_f64 v[36:37], v[36:37], -v[64:65]
	v_add_f64 v[23:24], v[24:25], -v[50:51]
	v_add_f64 v[25:26], v[26:27], -v[32:33]
	v_add_f64 v[64:65], v[0:1], -v[4:5]
	v_add_f64 v[0:1], v[4:5], v[0:1]
	v_mul_f64 v[4:5], v[90:91], v[58:59]
	v_add_f64 v[48:49], v[2:3], -v[38:39]
	v_add_f64 v[2:3], v[38:39], v[2:3]
	v_add_f64 v[38:39], v[19:20], v[17:18]
	;; [unrolled: 1-line block ×3, first 2 shown]
	v_fma_f64 v[58:59], v[56:57], v[90:91], -v[98:99]
	v_add_f64 v[98:99], v[64:65], v[36:37]
	v_add_f64 v[90:91], v[0:1], -v[19:20]
	v_fma_f64 v[4:5], v[56:57], v[92:93], v[4:5]
	v_add_f64 v[56:57], v[17:18], -v[0:1]
	v_add_f64 v[92:93], v[64:65], -v[36:37]
	;; [unrolled: 1-line block ×3, first 2 shown]
	v_add_f64 v[32:33], v[48:49], v[21:22]
	v_add_f64 v[38:39], v[0:1], v[38:39]
	;; [unrolled: 1-line block ×3, first 2 shown]
	v_add_f64 v[17:18], v[19:20], -v[17:18]
	v_add_f64 v[19:20], v[66:67], -v[34:35]
	;; [unrolled: 1-line block ×8, first 2 shown]
	v_add_f64 v[23:24], v[98:99], v[23:24]
	v_mul_f64 v[66:67], v[90:91], s[6:7]
	v_mul_f64 v[56:57], v[56:57], s[14:15]
	;; [unrolled: 1-line block ×4, first 2 shown]
	v_add_f64 v[25:26], v[32:33], v[25:26]
	v_add_f64 v[27:28], v[28:29], v[38:39]
	;; [unrolled: 1-line block ×3, first 2 shown]
	v_mul_f64 v[31:32], v[84:85], v[62:63]
	v_mul_f64 v[33:34], v[34:35], s[14:15]
	v_mul_f64 v[50:51], v[50:51], s[18:19]
	v_fma_f64 v[66:67], v[17:18], s[16:17], -v[66:67]
	v_fma_f64 v[90:91], v[90:91], s[6:7], v[56:57]
	v_fma_f64 v[17:18], v[17:18], s[22:23], -v[56:57]
	v_mul_f64 v[56:57], v[2:3], s[6:7]
	v_fma_f64 v[35:36], v[36:37], s[12:13], -v[92:93]
	v_fma_f64 v[92:93], v[64:65], s[28:29], v[92:93]
	v_fma_f64 v[64:65], v[64:65], s[26:27], -v[98:99]
	v_mul_f64 v[98:99], v[21:22], s[12:13]
	v_lshrrev_b32_e32 v37, 8, v102
	v_fma_f64 v[31:32], v[60:61], v[54:55], -v[31:32]
	v_mul_f64 v[54:55], v[54:55], v[62:63]
	v_fma_f64 v[21:22], v[21:22], s[12:13], -v[50:51]
	v_fma_f64 v[50:51], v[48:49], s[28:29], v[50:51]
	v_and_b32_e32 v37, 0x3f0, v37
	v_fma_f64 v[62:63], v[2:3], s[6:7], v[33:34]
	v_fma_f64 v[102:103], v[0:1], s[10:11], v[29:30]
	v_add_nc_u32_e32 v37, s20, v37
	ds_read_b128 v[0:3], v37 offset:2048
	v_fma_f64 v[37:38], v[38:39], s[10:11], v[27:28]
	v_fma_f64 v[56:57], v[19:20], s[16:17], -v[56:57]
	v_fma_f64 v[19:20], v[19:20], s[22:23], -v[33:34]
	v_fma_f64 v[92:93], v[23:24], s[24:25], v[92:93]
	v_fma_f64 v[35:36], v[23:24], s[24:25], v[35:36]
	v_fma_f64 v[33:34], v[48:49], s[26:27], -v[98:99]
	v_fma_f64 v[23:24], v[23:24], s[24:25], v[64:65]
	v_mul_f64 v[64:65], v[74:75], v[46:47]
	v_fma_f64 v[48:49], v[60:61], v[84:85], v[54:55]
	v_mul_f64 v[60:61], v[88:89], v[82:83]
	v_mul_f64 v[84:85], v[68:69], v[42:43]
	v_fma_f64 v[21:22], v[25:26], s[24:25], v[21:22]
	v_mul_f64 v[54:55], v[86:87], v[78:79]
	v_add_f64 v[62:63], v[62:63], v[102:103]
	v_mul_f64 v[42:43], v[70:71], v[42:43]
	v_mul_f64 v[46:47], v[94:95], v[46:47]
	s_waitcnt lgkmcnt(0)
	s_barrier
	buffer_gl0_inv
	v_mul_f64 v[98:99], v[72:73], v[2:3]
	v_mul_f64 v[2:3], v[100:101], v[2:3]
	v_add_f64 v[66:67], v[66:67], v[37:38]
	v_add_f64 v[17:18], v[17:18], v[37:38]
	;; [unrolled: 1-line block ×5, first 2 shown]
	v_fma_f64 v[33:34], v[25:26], s[24:25], v[33:34]
	v_fma_f64 v[25:26], v[25:26], s[24:25], v[50:51]
	v_mul_f64 v[50:51], v[96:97], v[78:79]
	v_mul_f64 v[78:79], v[52:53], v[82:83]
	v_fma_f64 v[52:53], v[80:81], v[52:53], v[60:61]
	v_fma_f64 v[60:61], v[40:41], v[70:71], v[84:85]
	;; [unrolled: 1-line block ×4, first 2 shown]
	v_add_f64 v[82:83], v[62:63], -v[92:93]
	v_add_f64 v[62:63], v[92:93], v[62:63]
	v_fma_f64 v[39:40], v[40:41], v[68:69], -v[42:43]
	v_fma_f64 v[41:42], v[44:45], v[74:75], -v[46:47]
	v_fma_f64 v[70:71], v[0:1], v[100:101], v[98:99]
	v_fma_f64 v[43:44], v[0:1], v[72:73], -v[2:3]
	v_mul_f64 v[0:1], v[29:30], v[4:5]
	v_add_f64 v[84:85], v[66:67], -v[21:22]
	v_add_f64 v[66:67], v[21:22], v[66:67]
	v_mul_f64 v[2:3], v[27:28], v[4:5]
	v_add_f64 v[90:91], v[35:36], v[56:57]
	v_add_f64 v[35:36], v[56:57], -v[35:36]
	v_add_f64 v[21:22], v[33:34], v[17:18]
	v_add_f64 v[33:34], v[17:18], -v[33:34]
	v_add_f64 v[17:18], v[25:26], v[37:38]
	v_add_f64 v[56:57], v[19:20], -v[23:24]
	v_add_f64 v[94:95], v[23:24], v[19:20]
	v_add_f64 v[37:38], v[37:38], -v[25:26]
	v_fma_f64 v[23:24], v[76:77], v[86:87], -v[50:51]
	v_fma_f64 v[50:51], v[80:81], v[88:89], -v[78:79]
	v_mul_f64 v[4:5], v[82:83], v[48:49]
	v_mul_f64 v[72:73], v[62:63], v[70:71]
	v_fma_f64 v[0:1], v[27:28], v[58:59], -v[0:1]
	v_fma_f64 v[2:3], v[29:30], v[58:59], v[2:3]
	v_mul_f64 v[45:46], v[21:22], v[54:55]
	v_mul_f64 v[19:20], v[17:18], v[48:49]
	;; [unrolled: 1-line block ×10, first 2 shown]
	v_fma_f64 v[17:18], v[17:18], v[31:32], -v[4:5]
	v_fma_f64 v[37:38], v[37:38], v[43:44], -v[72:73]
	v_fma_f64 v[19:20], v[82:83], v[31:32], v[19:20]
	v_fma_f64 v[21:22], v[21:22], v[23:24], -v[25:26]
	v_fma_f64 v[23:24], v[56:57], v[23:24], v[45:46]
	v_fma_f64 v[25:26], v[84:85], v[50:51], -v[47:48]
	v_fma_f64 v[27:28], v[90:91], v[50:51], v[52:53]
	v_fma_f64 v[29:30], v[66:67], v[39:40], -v[54:55]
	v_fma_f64 v[31:32], v[35:36], v[39:40], v[60:61]
	v_fma_f64 v[33:34], v[33:34], v[41:42], -v[68:69]
	v_fma_f64 v[35:36], v[94:95], v[41:42], v[64:65]
	v_fma_f64 v[39:40], v[62:63], v[43:44], v[70:71]
	ds_write_b128 v16, v[0:3]
	ds_write_b128 v16, v[17:20] offset:784
	ds_write_b128 v16, v[21:24] offset:1568
	;; [unrolled: 1-line block ×6, first 2 shown]
	s_waitcnt lgkmcnt(0)
	s_barrier
	buffer_gl0_inv
	s_and_saveexec_b32 s6, s30
	s_cbranch_execz .LBB0_18
; %bb.17:
	v_mad_u64_u32 v[4:5], null, s0, v11, 0
	v_mad_u64_u32 v[0:1], null, s2, v13, 0
	;; [unrolled: 1-line block ×3, first 2 shown]
	v_add3_u32 v31, 0, v15, v14
	v_mad_u64_u32 v[23:24], null, s0, v7, 0
	v_mov_b32_e32 v2, v5
	v_mad_u64_u32 v[27:28], null, s0, v6, 0
	v_mov_b32_e32 v3, v17
	v_mad_u64_u32 v[18:19], null, s3, v13, v[1:2]
	v_mad_u64_u32 v[19:20], null, s0, v10, 0
	;; [unrolled: 1-line block ×3, first 2 shown]
	s_lshl_b64 s[2:3], s[4:5], 4
	v_mov_b32_e32 v1, v18
	v_mad_u64_u32 v[17:18], null, s1, v12, v[3:4]
	s_add_u32 s2, s8, s2
	v_mov_b32_e32 v5, v13
	v_lshlrev_b64 v[21:22], 4, v[0:1]
	ds_read_b128 v[0:3], v31
	ds_read_b128 v[11:14], v31 offset:784
	s_addc_u32 s3, s9, s3
	v_mov_b32_e32 v15, v20
	v_lshlrev_b64 v[4:5], 4, v[4:5]
	v_lshlrev_b64 v[16:17], 4, v[16:17]
	v_add_co_u32 v32, vcc_lo, s2, v21
	v_add_co_ci_u32_e32 v33, vcc_lo, s3, v22, vcc_lo
	v_add_co_u32 v4, vcc_lo, v32, v4
	v_mad_u64_u32 v[20:21], null, s1, v10, v[15:16]
	v_add_co_ci_u32_e32 v5, vcc_lo, v33, v5, vcc_lo
	v_mad_u64_u32 v[21:22], null, s0, v9, 0
	v_add_co_u32 v15, vcc_lo, v32, v16
	v_add_co_ci_u32_e32 v16, vcc_lo, v33, v17, vcc_lo
	s_waitcnt lgkmcnt(1)
	global_store_dwordx4 v[4:5], v[0:3], off
	s_waitcnt lgkmcnt(0)
	global_store_dwordx4 v[15:16], v[11:14], off
	v_lshlrev_b64 v[1:2], 4, v[19:20]
	v_mov_b32_e32 v0, v22
	v_mad_u64_u32 v[4:5], null, s0, v8, 0
	v_mov_b32_e32 v15, v28
	v_mad_u64_u32 v[9:10], null, s1, v9, v[0:1]
	v_add_co_u32 v25, vcc_lo, v32, v1
	v_mov_b32_e32 v0, v5
	v_mov_b32_e32 v5, v24
	v_add_co_ci_u32_e32 v26, vcc_lo, v33, v2, vcc_lo
	v_mov_b32_e32 v22, v9
	v_mad_u64_u32 v[12:13], null, s1, v8, v[0:1]
	v_mad_u64_u32 v[16:17], null, s1, v7, v[5:6]
	v_lshlrev_b64 v[13:14], 4, v[21:22]
	ds_read_b128 v[0:3], v31 offset:1568
	ds_read_b128 v[8:11], v31 offset:2352
	v_mov_b32_e32 v5, v12
	v_mad_u64_u32 v[20:21], null, s1, v6, v[15:16]
	v_add_co_u32 v21, vcc_lo, v32, v13
	v_add_co_ci_u32_e32 v22, vcc_lo, v33, v14, vcc_lo
	v_mov_b32_e32 v24, v16
	v_lshlrev_b64 v[29:30], 4, v[4:5]
	ds_read_b128 v[4:7], v31 offset:3136
	ds_read_b128 v[12:15], v31 offset:3920
	;; [unrolled: 1-line block ×3, first 2 shown]
	v_mov_b32_e32 v28, v20
	v_lshlrev_b64 v[23:24], 4, v[23:24]
	v_add_co_u32 v29, vcc_lo, v32, v29
	v_lshlrev_b64 v[27:28], 4, v[27:28]
	v_add_co_ci_u32_e32 v30, vcc_lo, v33, v30, vcc_lo
	v_add_co_u32 v23, vcc_lo, v32, v23
	v_add_co_ci_u32_e32 v24, vcc_lo, v33, v24, vcc_lo
	v_add_co_u32 v27, vcc_lo, v32, v27
	v_add_co_ci_u32_e32 v28, vcc_lo, v33, v28, vcc_lo
	s_waitcnt lgkmcnt(4)
	global_store_dwordx4 v[25:26], v[0:3], off
	s_waitcnt lgkmcnt(3)
	global_store_dwordx4 v[21:22], v[8:11], off
	;; [unrolled: 2-line block ×5, first 2 shown]
.LBB0_18:
	s_endpgm
	.section	.rodata,"a",@progbits
	.p2align	6, 0x0
	.amdhsa_kernel fft_rtc_fwd_len343_factors_7_7_7_wgs_245_tpt_49_dp_ip_CI_sbcc_twdbase6_3step
		.amdhsa_group_segment_fixed_size 0
		.amdhsa_private_segment_fixed_size 0
		.amdhsa_kernarg_size 96
		.amdhsa_user_sgpr_count 6
		.amdhsa_user_sgpr_private_segment_buffer 1
		.amdhsa_user_sgpr_dispatch_ptr 0
		.amdhsa_user_sgpr_queue_ptr 0
		.amdhsa_user_sgpr_kernarg_segment_ptr 1
		.amdhsa_user_sgpr_dispatch_id 0
		.amdhsa_user_sgpr_flat_scratch_init 0
		.amdhsa_user_sgpr_private_segment_size 0
		.amdhsa_wavefront_size32 1
		.amdhsa_uses_dynamic_stack 0
		.amdhsa_system_sgpr_private_segment_wavefront_offset 0
		.amdhsa_system_sgpr_workgroup_id_x 1
		.amdhsa_system_sgpr_workgroup_id_y 0
		.amdhsa_system_sgpr_workgroup_id_z 0
		.amdhsa_system_sgpr_workgroup_info 0
		.amdhsa_system_vgpr_workitem_id 0
		.amdhsa_next_free_vgpr 104
		.amdhsa_next_free_sgpr 44
		.amdhsa_reserve_vcc 1
		.amdhsa_reserve_flat_scratch 0
		.amdhsa_float_round_mode_32 0
		.amdhsa_float_round_mode_16_64 0
		.amdhsa_float_denorm_mode_32 3
		.amdhsa_float_denorm_mode_16_64 3
		.amdhsa_dx10_clamp 1
		.amdhsa_ieee_mode 1
		.amdhsa_fp16_overflow 0
		.amdhsa_workgroup_processor_mode 1
		.amdhsa_memory_ordered 1
		.amdhsa_forward_progress 0
		.amdhsa_shared_vgpr_count 0
		.amdhsa_exception_fp_ieee_invalid_op 0
		.amdhsa_exception_fp_denorm_src 0
		.amdhsa_exception_fp_ieee_div_zero 0
		.amdhsa_exception_fp_ieee_overflow 0
		.amdhsa_exception_fp_ieee_underflow 0
		.amdhsa_exception_fp_ieee_inexact 0
		.amdhsa_exception_int_div_zero 0
	.end_amdhsa_kernel
	.text
.Lfunc_end0:
	.size	fft_rtc_fwd_len343_factors_7_7_7_wgs_245_tpt_49_dp_ip_CI_sbcc_twdbase6_3step, .Lfunc_end0-fft_rtc_fwd_len343_factors_7_7_7_wgs_245_tpt_49_dp_ip_CI_sbcc_twdbase6_3step
                                        ; -- End function
	.section	.AMDGPU.csdata,"",@progbits
; Kernel info:
; codeLenInByte = 7508
; NumSgprs: 46
; NumVgprs: 104
; ScratchSize: 0
; MemoryBound: 0
; FloatMode: 240
; IeeeMode: 1
; LDSByteSize: 0 bytes/workgroup (compile time only)
; SGPRBlocks: 5
; VGPRBlocks: 12
; NumSGPRsForWavesPerEU: 46
; NumVGPRsForWavesPerEU: 104
; Occupancy: 9
; WaveLimiterHint : 1
; COMPUTE_PGM_RSRC2:SCRATCH_EN: 0
; COMPUTE_PGM_RSRC2:USER_SGPR: 6
; COMPUTE_PGM_RSRC2:TRAP_HANDLER: 0
; COMPUTE_PGM_RSRC2:TGID_X_EN: 1
; COMPUTE_PGM_RSRC2:TGID_Y_EN: 0
; COMPUTE_PGM_RSRC2:TGID_Z_EN: 0
; COMPUTE_PGM_RSRC2:TIDIG_COMP_CNT: 0
	.text
	.p2alignl 6, 3214868480
	.fill 48, 4, 3214868480
	.type	__hip_cuid_45ae6a45b771770,@object ; @__hip_cuid_45ae6a45b771770
	.section	.bss,"aw",@nobits
	.globl	__hip_cuid_45ae6a45b771770
__hip_cuid_45ae6a45b771770:
	.byte	0                               ; 0x0
	.size	__hip_cuid_45ae6a45b771770, 1

	.ident	"AMD clang version 19.0.0git (https://github.com/RadeonOpenCompute/llvm-project roc-6.4.0 25133 c7fe45cf4b819c5991fe208aaa96edf142730f1d)"
	.section	".note.GNU-stack","",@progbits
	.addrsig
	.addrsig_sym __hip_cuid_45ae6a45b771770
	.amdgpu_metadata
---
amdhsa.kernels:
  - .args:
      - .actual_access:  read_only
        .address_space:  global
        .offset:         0
        .size:           8
        .value_kind:     global_buffer
      - .address_space:  global
        .offset:         8
        .size:           8
        .value_kind:     global_buffer
      - .offset:         16
        .size:           8
        .value_kind:     by_value
      - .actual_access:  read_only
        .address_space:  global
        .offset:         24
        .size:           8
        .value_kind:     global_buffer
      - .actual_access:  read_only
        .address_space:  global
        .offset:         32
        .size:           8
        .value_kind:     global_buffer
      - .offset:         40
        .size:           8
        .value_kind:     by_value
      - .actual_access:  read_only
        .address_space:  global
        .offset:         48
        .size:           8
        .value_kind:     global_buffer
      - .actual_access:  read_only
        .address_space:  global
        .offset:         56
        .size:           8
        .value_kind:     global_buffer
      - .offset:         64
        .size:           4
        .value_kind:     by_value
      - .actual_access:  read_only
        .address_space:  global
        .offset:         72
        .size:           8
        .value_kind:     global_buffer
      - .actual_access:  read_only
        .address_space:  global
        .offset:         80
        .size:           8
        .value_kind:     global_buffer
      - .address_space:  global
        .offset:         88
        .size:           8
        .value_kind:     global_buffer
    .group_segment_fixed_size: 0
    .kernarg_segment_align: 8
    .kernarg_segment_size: 96
    .language:       OpenCL C
    .language_version:
      - 2
      - 0
    .max_flat_workgroup_size: 245
    .name:           fft_rtc_fwd_len343_factors_7_7_7_wgs_245_tpt_49_dp_ip_CI_sbcc_twdbase6_3step
    .private_segment_fixed_size: 0
    .sgpr_count:     46
    .sgpr_spill_count: 0
    .symbol:         fft_rtc_fwd_len343_factors_7_7_7_wgs_245_tpt_49_dp_ip_CI_sbcc_twdbase6_3step.kd
    .uniform_work_group_size: 1
    .uses_dynamic_stack: false
    .vgpr_count:     104
    .vgpr_spill_count: 0
    .wavefront_size: 32
    .workgroup_processor_mode: 1
amdhsa.target:   amdgcn-amd-amdhsa--gfx1030
amdhsa.version:
  - 1
  - 2
...

	.end_amdgpu_metadata
